;; amdgpu-corpus repo=ROCm/rocFFT kind=compiled arch=gfx1100 opt=O3
	.text
	.amdgcn_target "amdgcn-amd-amdhsa--gfx1100"
	.amdhsa_code_object_version 6
	.protected	fft_rtc_back_len125_factors_5_5_5_wgs_400_tpt_25_sp_op_CI_CI_sbcc_twdbase6_3step_dirReg_intrinsicRead ; -- Begin function fft_rtc_back_len125_factors_5_5_5_wgs_400_tpt_25_sp_op_CI_CI_sbcc_twdbase6_3step_dirReg_intrinsicRead
	.globl	fft_rtc_back_len125_factors_5_5_5_wgs_400_tpt_25_sp_op_CI_CI_sbcc_twdbase6_3step_dirReg_intrinsicRead
	.p2align	8
	.type	fft_rtc_back_len125_factors_5_5_5_wgs_400_tpt_25_sp_op_CI_CI_sbcc_twdbase6_3step_dirReg_intrinsicRead,@function
fft_rtc_back_len125_factors_5_5_5_wgs_400_tpt_25_sp_op_CI_CI_sbcc_twdbase6_3step_dirReg_intrinsicRead: ; @fft_rtc_back_len125_factors_5_5_5_wgs_400_tpt_25_sp_op_CI_CI_sbcc_twdbase6_3step_dirReg_intrinsicRead
; %bb.0:
	s_clause 0x1
	s_load_b256 s[4:11], s[0:1], 0x8
	s_load_b64 s[24:25], s[0:1], 0x28
	s_mov_b32 s26, s15
	s_mov_b32 s2, exec_lo
	v_cmpx_gt_u32_e32 0xc0, v0
	s_cbranch_execz .LBB0_2
; %bb.1:
	v_lshlrev_b32_e32 v3, 3, v0
	s_waitcnt lgkmcnt(0)
	global_load_b64 v[1:2], v3, s[4:5]
	v_add_nc_u32_e32 v3, 0, v3
	s_waitcnt vmcnt(0)
	ds_store_b64 v3, v[1:2] offset:16000
.LBB0_2:
	s_or_b32 exec_lo, exec_lo, s2
	s_waitcnt lgkmcnt(0)
	s_load_b64 s[4:5], s[8:9], 0x8
	s_mov_b32 s27, 0
	s_waitcnt lgkmcnt(0)
	s_add_u32 s2, s4, -1
	s_addc_u32 s3, s5, -1
	s_delay_alu instid0(SALU_CYCLE_1) | instskip(NEXT) | instid1(SALU_CYCLE_1)
	s_lshr_b64 s[2:3], s[2:3], 4
	s_add_u32 s28, s2, 1
	s_addc_u32 s29, s3, 0
	s_delay_alu instid0(SALU_CYCLE_1) | instskip(NEXT) | instid1(VALU_DEP_1)
	v_cmp_lt_u64_e64 s2, s[26:27], s[28:29]
	s_and_b32 vcc_lo, exec_lo, s2
	s_mov_b64 s[2:3], 0
	s_cbranch_vccnz .LBB0_4
; %bb.3:
	v_cvt_f32_u32_e32 v1, s28
	s_sub_i32 s3, 0, s28
	s_delay_alu instid0(VALU_DEP_1) | instskip(SKIP_2) | instid1(VALU_DEP_1)
	v_rcp_iflag_f32_e32 v1, v1
	s_waitcnt_depctr 0xfff
	v_mul_f32_e32 v1, 0x4f7ffffe, v1
	v_cvt_u32_f32_e32 v1, v1
	s_delay_alu instid0(VALU_DEP_1) | instskip(NEXT) | instid1(VALU_DEP_1)
	v_readfirstlane_b32 s2, v1
	s_mul_i32 s3, s3, s2
	s_delay_alu instid0(SALU_CYCLE_1) | instskip(NEXT) | instid1(SALU_CYCLE_1)
	s_mul_hi_u32 s3, s2, s3
	s_add_i32 s2, s2, s3
	s_delay_alu instid0(SALU_CYCLE_1) | instskip(NEXT) | instid1(SALU_CYCLE_1)
	s_mul_hi_u32 s2, s26, s2
	s_mul_i32 s3, s2, s28
	s_add_i32 s12, s2, 1
	s_sub_i32 s3, s26, s3
	s_delay_alu instid0(SALU_CYCLE_1)
	s_sub_i32 s13, s3, s28
	s_cmp_ge_u32 s3, s28
	s_cselect_b32 s2, s12, s2
	s_cselect_b32 s3, s13, s3
	s_add_i32 s12, s2, 1
	s_cmp_ge_u32 s3, s28
	s_mov_b32 s3, s27
	s_cselect_b32 s2, s12, s2
.LBB0_4:
	s_load_b128 s[20:23], s[10:11], 0x0
	s_load_b128 s[12:15], s[24:25], 0x0
	s_mul_i32 s16, s2, s29
	s_mul_hi_u32 s17, s2, s28
	s_mul_i32 s18, s2, s28
	s_add_i32 s17, s17, s16
	s_sub_u32 s30, s26, s18
	s_subb_u32 s31, 0, s17
	s_clause 0x1
	s_load_b128 s[16:19], s[0:1], 0x60
	s_load_b64 s[0:1], s[0:1], 0x0
	v_alignbit_b32 v1, s31, s30, 28
	s_lshl_b64 s[30:31], s[30:31], 4
	s_waitcnt lgkmcnt(0)
	v_cmp_lt_u64_e64 s21, s[6:7], 3
	s_delay_alu instid0(VALU_DEP_1)
	s_and_b32 vcc_lo, exec_lo, s21
	v_mul_lo_u32 v2, s22, v1
	v_mul_lo_u32 v1, s14, v1
	s_mul_hi_u32 s33, s22, s30
	s_mul_hi_u32 s36, s14, s30
	s_mul_i32 s34, s23, s30
	s_mul_i32 s35, s22, s30
	s_mul_i32 s37, s15, s30
	s_delay_alu instid0(VALU_DEP_2) | instskip(NEXT) | instid1(VALU_DEP_2)
	v_add_nc_u32_e32 v2, s33, v2
	v_add_nc_u32_e32 v4, s36, v1
	s_mul_i32 s33, s14, s30
	s_delay_alu instid0(SALU_CYCLE_1) | instskip(NEXT) | instid1(VALU_DEP_3)
	v_dual_mov_b32 v1, s33 :: v_dual_mov_b32 v6, s35
	v_add_nc_u32_e32 v3, s34, v2
	s_delay_alu instid0(VALU_DEP_3)
	v_add_nc_u32_e32 v2, s37, v4
	s_cbranch_vccnz .LBB0_13
; %bb.5:
	s_add_u32 s34, s24, 16
	s_addc_u32 s35, s25, 0
	s_add_u32 s36, s10, 16
	s_addc_u32 s37, s11, 0
	;; [unrolled: 2-line block ×3, first 2 shown]
	s_mov_b64 s[38:39], 2
	s_mov_b32 s40, 0
	s_branch .LBB0_7
.LBB0_6:                                ;   in Loop: Header=BB0_7 Depth=1
	s_load_b64 s[46:47], s[36:37], 0x0
	s_load_b64 s[48:49], s[34:35], 0x0
	s_mul_i32 s21, s42, s29
	s_mul_hi_u32 s29, s42, s28
	s_mul_i32 s33, s43, s28
	s_mul_i32 s41, s44, s43
	s_mul_hi_u32 s43, s44, s42
	s_mul_i32 s50, s45, s42
	s_add_i32 s21, s29, s21
	s_add_i32 s41, s43, s41
	s_mul_i32 s51, s44, s42
	s_add_i32 s29, s21, s33
	s_add_i32 s41, s41, s50
	s_sub_u32 s2, s2, s51
	s_subb_u32 s3, s3, s41
	s_mul_i32 s28, s42, s28
	s_waitcnt lgkmcnt(0)
	s_mul_i32 s21, s46, s3
	s_mul_hi_u32 s33, s46, s2
	s_mul_i32 s3, s48, s3
	s_mul_hi_u32 s43, s48, s2
	s_mul_i32 s41, s47, s2
	s_add_i32 s21, s33, s21
	s_add_i32 s3, s43, s3
	s_mul_i32 s33, s49, s2
	s_mul_i32 s42, s46, s2
	s_add_i32 s21, s21, s41
	s_add_i32 s3, s3, s33
	v_add_co_u32 v6, vcc_lo, s42, v6
	s_add_u32 s38, s38, 1
	s_mul_i32 s2, s48, s2
	s_addc_u32 s39, s39, 0
	v_add_co_ci_u32_e32 v3, vcc_lo, s21, v3, vcc_lo
	v_add_co_u32 v1, vcc_lo, s2, v1
	v_cmp_ge_u64_e64 s2, s[38:39], s[6:7]
	s_add_u32 s34, s34, 8
	s_addc_u32 s35, s35, 0
	v_add_co_ci_u32_e32 v2, vcc_lo, s3, v2, vcc_lo
	s_add_u32 s36, s36, 8
	s_addc_u32 s37, s37, 0
	s_add_u32 s8, s8, 8
	s_addc_u32 s9, s9, 0
	s_and_b32 vcc_lo, exec_lo, s2
	s_mov_b64 s[2:3], s[44:45]
	s_cbranch_vccnz .LBB0_11
.LBB0_7:                                ; =>This Inner Loop Header: Depth=1
	s_load_b64 s[42:43], s[8:9], 0x0
	s_mov_b32 s21, -1
	s_waitcnt lgkmcnt(0)
	s_or_b64 s[44:45], s[2:3], s[42:43]
	s_delay_alu instid0(SALU_CYCLE_1) | instskip(NEXT) | instid1(SALU_CYCLE_1)
	s_mov_b32 s41, s45
                                        ; implicit-def: $sgpr44_sgpr45
	s_cmp_lg_u64 s[40:41], 0
	s_cbranch_scc0 .LBB0_9
; %bb.8:                                ;   in Loop: Header=BB0_7 Depth=1
	v_cvt_f32_u32_e32 v4, s42
	v_cvt_f32_u32_e32 v5, s43
	s_sub_u32 s41, 0, s42
	s_subb_u32 s44, 0, s43
	s_delay_alu instid0(VALU_DEP_1) | instskip(NEXT) | instid1(VALU_DEP_1)
	v_fmac_f32_e32 v4, 0x4f800000, v5
	v_rcp_f32_e32 v4, v4
	s_waitcnt_depctr 0xfff
	v_mul_f32_e32 v4, 0x5f7ffffc, v4
	s_delay_alu instid0(VALU_DEP_1) | instskip(NEXT) | instid1(VALU_DEP_1)
	v_mul_f32_e32 v5, 0x2f800000, v4
	v_trunc_f32_e32 v5, v5
	s_delay_alu instid0(VALU_DEP_1) | instskip(SKIP_1) | instid1(VALU_DEP_2)
	v_fmac_f32_e32 v4, 0xcf800000, v5
	v_cvt_u32_f32_e32 v5, v5
	v_cvt_u32_f32_e32 v4, v4
	s_delay_alu instid0(VALU_DEP_2) | instskip(NEXT) | instid1(VALU_DEP_2)
	v_readfirstlane_b32 s21, v5
	v_readfirstlane_b32 s33, v4
	s_delay_alu instid0(VALU_DEP_2) | instskip(NEXT) | instid1(VALU_DEP_1)
	s_mul_i32 s45, s41, s21
	s_mul_hi_u32 s47, s41, s33
	s_mul_i32 s46, s44, s33
	s_add_i32 s45, s47, s45
	s_mul_i32 s48, s41, s33
	s_add_i32 s45, s45, s46
	s_mul_hi_u32 s47, s33, s48
	s_mul_hi_u32 s49, s21, s48
	s_mul_i32 s46, s21, s48
	s_mul_hi_u32 s48, s33, s45
	s_mul_i32 s33, s33, s45
	s_mul_hi_u32 s50, s21, s45
	s_add_u32 s33, s47, s33
	s_addc_u32 s47, 0, s48
	s_add_u32 s33, s33, s46
	s_mul_i32 s45, s21, s45
	s_addc_u32 s33, s47, s49
	s_addc_u32 s46, s50, 0
	s_add_u32 s33, s33, s45
	s_addc_u32 s45, 0, s46
	v_add_co_u32 v4, s33, v4, s33
	s_delay_alu instid0(VALU_DEP_1) | instskip(SKIP_1) | instid1(VALU_DEP_1)
	s_cmp_lg_u32 s33, 0
	s_addc_u32 s21, s21, s45
	v_readfirstlane_b32 s33, v4
	s_mul_i32 s45, s41, s21
	s_delay_alu instid0(VALU_DEP_1)
	s_mul_hi_u32 s46, s41, s33
	s_mul_i32 s44, s44, s33
	s_add_i32 s45, s46, s45
	s_mul_i32 s41, s41, s33
	s_add_i32 s45, s45, s44
	s_mul_hi_u32 s46, s21, s41
	s_mul_i32 s47, s21, s41
	s_mul_hi_u32 s41, s33, s41
	s_mul_hi_u32 s48, s33, s45
	s_mul_i32 s33, s33, s45
	s_mul_hi_u32 s44, s21, s45
	s_add_u32 s33, s41, s33
	s_addc_u32 s41, 0, s48
	s_add_u32 s33, s33, s47
	s_mul_i32 s45, s21, s45
	s_addc_u32 s33, s41, s46
	s_addc_u32 s41, s44, 0
	s_add_u32 s33, s33, s45
	s_addc_u32 s41, 0, s41
	v_add_co_u32 v4, s33, v4, s33
	s_delay_alu instid0(VALU_DEP_1) | instskip(SKIP_1) | instid1(VALU_DEP_1)
	s_cmp_lg_u32 s33, 0
	s_addc_u32 s21, s21, s41
	v_readfirstlane_b32 s33, v4
	s_mul_i32 s44, s2, s21
	s_mul_hi_u32 s41, s2, s21
	s_mul_hi_u32 s45, s3, s21
	s_mul_i32 s21, s3, s21
	s_mul_hi_u32 s46, s2, s33
	s_mul_hi_u32 s47, s3, s33
	s_mul_i32 s33, s3, s33
	s_add_u32 s44, s46, s44
	s_addc_u32 s41, 0, s41
	s_add_u32 s33, s44, s33
	s_addc_u32 s33, s41, s47
	s_addc_u32 s41, s45, 0
	s_add_u32 s33, s33, s21
	s_addc_u32 s41, 0, s41
	s_mul_hi_u32 s21, s42, s33
	s_mul_i32 s45, s42, s41
	s_mul_i32 s46, s42, s33
	s_add_i32 s21, s21, s45
	v_sub_co_u32 v4, s45, s2, s46
	s_mul_i32 s44, s43, s33
	s_delay_alu instid0(SALU_CYCLE_1) | instskip(NEXT) | instid1(VALU_DEP_1)
	s_add_i32 s21, s21, s44
	v_sub_co_u32 v5, s46, v4, s42
	s_sub_i32 s44, s3, s21
	s_cmp_lg_u32 s45, 0
	s_subb_u32 s44, s44, s43
	s_cmp_lg_u32 s46, 0
	v_readfirstlane_b32 s46, v5
	s_subb_u32 s44, s44, 0
	s_delay_alu instid0(SALU_CYCLE_1) | instskip(SKIP_1) | instid1(VALU_DEP_1)
	s_cmp_ge_u32 s44, s43
	s_cselect_b32 s47, -1, 0
	s_cmp_ge_u32 s46, s42
	s_cselect_b32 s46, -1, 0
	s_cmp_eq_u32 s44, s43
	s_cselect_b32 s44, s46, s47
	s_add_u32 s46, s33, 1
	s_addc_u32 s47, s41, 0
	s_add_u32 s48, s33, 2
	s_addc_u32 s49, s41, 0
	s_cmp_lg_u32 s44, 0
	s_cselect_b32 s44, s48, s46
	s_cselect_b32 s46, s49, s47
	s_cmp_lg_u32 s45, 0
	v_readfirstlane_b32 s45, v4
	s_subb_u32 s21, s3, s21
	s_delay_alu instid0(SALU_CYCLE_1) | instskip(SKIP_1) | instid1(VALU_DEP_1)
	s_cmp_ge_u32 s21, s43
	s_cselect_b32 s47, -1, 0
	s_cmp_ge_u32 s45, s42
	s_cselect_b32 s45, -1, 0
	s_cmp_eq_u32 s21, s43
	s_cselect_b32 s21, s45, s47
	s_delay_alu instid0(SALU_CYCLE_1)
	s_cmp_lg_u32 s21, 0
	s_mov_b32 s21, 0
	s_cselect_b32 s45, s46, s41
	s_cselect_b32 s44, s44, s33
.LBB0_9:                                ;   in Loop: Header=BB0_7 Depth=1
	s_and_not1_b32 vcc_lo, exec_lo, s21
	s_cbranch_vccnz .LBB0_6
; %bb.10:                               ;   in Loop: Header=BB0_7 Depth=1
	v_cvt_f32_u32_e32 v4, s42
	s_sub_i32 s33, 0, s42
	s_mov_b32 s45, s40
	s_delay_alu instid0(VALU_DEP_1) | instskip(SKIP_2) | instid1(VALU_DEP_1)
	v_rcp_iflag_f32_e32 v4, v4
	s_waitcnt_depctr 0xfff
	v_mul_f32_e32 v4, 0x4f7ffffe, v4
	v_cvt_u32_f32_e32 v4, v4
	s_delay_alu instid0(VALU_DEP_1) | instskip(NEXT) | instid1(VALU_DEP_1)
	v_readfirstlane_b32 s21, v4
	s_mul_i32 s33, s33, s21
	s_delay_alu instid0(SALU_CYCLE_1) | instskip(NEXT) | instid1(SALU_CYCLE_1)
	s_mul_hi_u32 s33, s21, s33
	s_add_i32 s21, s21, s33
	s_delay_alu instid0(SALU_CYCLE_1) | instskip(NEXT) | instid1(SALU_CYCLE_1)
	s_mul_hi_u32 s21, s2, s21
	s_mul_i32 s33, s21, s42
	s_add_i32 s41, s21, 1
	s_sub_i32 s33, s2, s33
	s_delay_alu instid0(SALU_CYCLE_1)
	s_sub_i32 s44, s33, s42
	s_cmp_ge_u32 s33, s42
	s_cselect_b32 s21, s41, s21
	s_cselect_b32 s33, s44, s33
	s_add_i32 s41, s21, 1
	s_cmp_ge_u32 s33, s42
	s_cselect_b32 s44, s41, s21
	s_branch .LBB0_6
.LBB0_11:
	v_cmp_lt_u64_e64 s2, s[26:27], s[28:29]
	s_delay_alu instid0(VALU_DEP_1)
	s_and_b32 vcc_lo, exec_lo, s2
	s_mov_b64 s[2:3], 0
	s_cbranch_vccnz .LBB0_13
; %bb.12:
	v_cvt_f32_u32_e32 v3, s28
	s_sub_i32 s3, 0, s28
	s_delay_alu instid0(VALU_DEP_1) | instskip(SKIP_2) | instid1(VALU_DEP_1)
	v_rcp_iflag_f32_e32 v3, v3
	s_waitcnt_depctr 0xfff
	v_mul_f32_e32 v3, 0x4f7ffffe, v3
	v_cvt_u32_f32_e32 v3, v3
	s_delay_alu instid0(VALU_DEP_1) | instskip(NEXT) | instid1(VALU_DEP_1)
	v_readfirstlane_b32 s2, v3
	s_mul_i32 s3, s3, s2
	s_delay_alu instid0(SALU_CYCLE_1) | instskip(NEXT) | instid1(SALU_CYCLE_1)
	s_mul_hi_u32 s3, s2, s3
	s_add_i32 s2, s2, s3
	s_delay_alu instid0(SALU_CYCLE_1) | instskip(NEXT) | instid1(SALU_CYCLE_1)
	s_mul_hi_u32 s2, s26, s2
	s_mul_i32 s3, s2, s28
	s_add_i32 s8, s2, 1
	s_sub_i32 s3, s26, s3
	s_delay_alu instid0(SALU_CYCLE_1)
	s_sub_i32 s9, s3, s28
	s_cmp_ge_u32 s3, s28
	s_cselect_b32 s2, s8, s2
	s_cselect_b32 s3, s9, s3
	s_add_i32 s8, s2, 1
	s_cmp_ge_u32 s3, s28
	s_cselect_b32 s2, s8, s2
.LBB0_13:
	s_lshl_b64 s[6:7], s[6:7], 3
	v_dual_mov_b32 v4, s31 :: v_dual_and_b32 v15, 15, v0
	s_add_u32 s8, s10, s6
	s_addc_u32 s9, s11, s7
	s_add_u32 s6, s24, s6
	s_load_b64 s[8:9], s[8:9], 0x0
	v_mad_u64_u32 v[12:13], null, s22, v15, 0
	v_or_b32_e32 v3, s30, v15
	s_addc_u32 s7, s25, s7
	s_add_u32 s10, s30, 16
	s_addc_u32 s11, s31, 0
	v_mov_b32_e32 v7, 0
	v_cmp_le_u64_e64 s3, s[10:11], s[4:5]
	s_delay_alu instid0(VALU_DEP_4) | instskip(SKIP_3) | instid1(VALU_DEP_4)
	v_mov_b32_e32 v8, v13
	v_cmp_gt_u64_e32 vcc_lo, s[4:5], v[3:4]
	v_lshrrev_b32_e32 v16, 4, v0
	v_dual_mov_b32 v5, 0 :: v_dual_mov_b32 v4, 0
	v_mad_u64_u32 v[9:10], null, s23, v15, v[8:9]
	s_or_b32 s3, s3, vcc_lo
	s_waitcnt lgkmcnt(0)
	s_mul_i32 s4, s8, s2
	s_delay_alu instid0(SALU_CYCLE_1)
	v_add_co_u32 v17, null, s4, v6
	s_and_saveexec_b32 s4, s3
	s_cbranch_execz .LBB0_15
; %bb.14:
	v_mul_lo_u32 v4, s20, v16
	s_delay_alu instid0(VALU_DEP_1) | instskip(NEXT) | instid1(VALU_DEP_1)
	v_add3_u32 v6, v17, v12, v4
	v_lshlrev_b64 v[4:5], 3, v[6:7]
	s_delay_alu instid0(VALU_DEP_1) | instskip(NEXT) | instid1(VALU_DEP_2)
	v_add_co_u32 v4, vcc_lo, s16, v4
	v_add_co_ci_u32_e32 v5, vcc_lo, s17, v5, vcc_lo
	global_load_b64 v[4:5], v[4:5], off
.LBB0_15:
	s_or_b32 exec_lo, exec_lo, s4
	v_mov_b32_e32 v6, 0
	s_and_saveexec_b32 s4, s3
	s_cbranch_execz .LBB0_17
; %bb.16:
	v_dual_mov_b32 v7, 0 :: v_dual_add_nc_u32 v6, 25, v16
	s_delay_alu instid0(VALU_DEP_1) | instskip(NEXT) | instid1(VALU_DEP_1)
	v_mul_lo_u32 v6, s20, v6
	v_add3_u32 v6, v17, v12, v6
	s_delay_alu instid0(VALU_DEP_1) | instskip(NEXT) | instid1(VALU_DEP_1)
	v_lshlrev_b64 v[6:7], 3, v[6:7]
	v_add_co_u32 v6, vcc_lo, s16, v6
	s_delay_alu instid0(VALU_DEP_2)
	v_add_co_ci_u32_e32 v7, vcc_lo, s17, v7, vcc_lo
	global_load_b64 v[6:7], v[6:7], off
.LBB0_17:
	s_or_b32 exec_lo, exec_lo, s4
	v_dual_mov_b32 v9, 0 :: v_dual_mov_b32 v10, 0
	v_mov_b32_e32 v11, 0
	s_and_saveexec_b32 s4, s3
	s_cbranch_execz .LBB0_19
; %bb.18:
	v_dual_mov_b32 v11, 0 :: v_dual_add_nc_u32 v8, 50, v16
	s_delay_alu instid0(VALU_DEP_1) | instskip(NEXT) | instid1(VALU_DEP_1)
	v_mul_lo_u32 v8, s20, v8
	v_add3_u32 v10, v17, v12, v8
	s_delay_alu instid0(VALU_DEP_1) | instskip(NEXT) | instid1(VALU_DEP_1)
	v_lshlrev_b64 v[10:11], 3, v[10:11]
	v_add_co_u32 v10, vcc_lo, s16, v10
	s_delay_alu instid0(VALU_DEP_2)
	v_add_co_ci_u32_e32 v11, vcc_lo, s17, v11, vcc_lo
	global_load_b64 v[10:11], v[10:11], off
.LBB0_19:
	s_or_b32 exec_lo, exec_lo, s4
	v_mov_b32_e32 v8, 0
	s_and_saveexec_b32 s4, s3
	s_cbranch_execz .LBB0_21
; %bb.20:
	v_dual_mov_b32 v9, 0 :: v_dual_add_nc_u32 v8, 0x4b, v16
	s_delay_alu instid0(VALU_DEP_1) | instskip(NEXT) | instid1(VALU_DEP_1)
	v_mul_lo_u32 v8, s20, v8
	v_add3_u32 v8, v17, v12, v8
	s_delay_alu instid0(VALU_DEP_1) | instskip(NEXT) | instid1(VALU_DEP_1)
	v_lshlrev_b64 v[8:9], 3, v[8:9]
	v_add_co_u32 v8, vcc_lo, s16, v8
	s_delay_alu instid0(VALU_DEP_2)
	v_add_co_ci_u32_e32 v9, vcc_lo, s17, v9, vcc_lo
	global_load_b64 v[8:9], v[8:9], off
.LBB0_21:
	s_or_b32 exec_lo, exec_lo, s4
	v_dual_mov_b32 v14, 0 :: v_dual_mov_b32 v13, 0
	s_and_saveexec_b32 s4, s3
	s_cbranch_execz .LBB0_23
; %bb.22:
	v_add_nc_u32_e32 v13, 0x64, v16
	s_delay_alu instid0(VALU_DEP_1) | instskip(SKIP_1) | instid1(VALU_DEP_2)
	v_mul_lo_u32 v14, s20, v13
	v_mov_b32_e32 v13, 0
	v_add3_u32 v12, v17, v12, v14
	s_delay_alu instid0(VALU_DEP_1) | instskip(NEXT) | instid1(VALU_DEP_1)
	v_lshlrev_b64 v[12:13], 3, v[12:13]
	v_add_co_u32 v12, vcc_lo, s16, v12
	s_delay_alu instid0(VALU_DEP_2)
	v_add_co_ci_u32_e32 v13, vcc_lo, s17, v13, vcc_lo
	global_load_b64 v[13:14], v[12:13], off
.LBB0_23:
	s_or_b32 exec_lo, exec_lo, s4
	s_waitcnt vmcnt(0)
	v_dual_add_f32 v18, v4, v6 :: v_dual_sub_f32 v21, v13, v8
	v_dual_sub_f32 v22, v11, v9 :: v_dual_sub_f32 v19, v6, v10
	v_add_f32_e32 v12, v10, v8
	v_dual_sub_f32 v20, v7, v14 :: v_dual_add_f32 v23, v6, v13
	s_load_b64 s[4:5], s[6:7], 0x0
	v_sub_f32_e32 v25, v8, v13
	s_delay_alu instid0(VALU_DEP_3) | instskip(SKIP_1) | instid1(VALU_DEP_2)
	v_fma_f32 v17, -0.5, v12, v4
	v_add_f32_e32 v18, v18, v10
	v_fmamk_f32 v12, v20, 0xbf737871, v17
	v_fmac_f32_e32 v17, 0x3f737871, v20
	s_delay_alu instid0(VALU_DEP_3)
	v_add_f32_e32 v18, v18, v8
	v_fmac_f32_e32 v4, -0.5, v23
	v_add_f32_e32 v24, v19, v21
	v_add_f32_e32 v23, v11, v9
	v_fmac_f32_e32 v17, 0x3f167918, v22
	v_add_f32_e32 v21, v18, v13
	v_fmamk_f32 v19, v22, 0x3f737871, v4
	v_fmac_f32_e32 v12, 0xbf167918, v22
	v_fma_f32 v18, -0.5, v23, v5
	v_fmac_f32_e32 v17, 0x3e9e377a, v24
	s_delay_alu instid0(VALU_DEP_4) | instskip(NEXT) | instid1(VALU_DEP_4)
	v_fmac_f32_e32 v19, 0xbf167918, v20
	v_fmac_f32_e32 v12, 0x3e9e377a, v24
	v_sub_f32_e32 v24, v10, v6
	v_sub_f32_e32 v6, v6, v13
	s_delay_alu instid0(VALU_DEP_2) | instskip(SKIP_1) | instid1(VALU_DEP_3)
	v_add_f32_e32 v23, v24, v25
	v_dual_add_f32 v25, v7, v14 :: v_dual_add_f32 v26, v5, v7
	v_fmamk_f32 v13, v6, 0x3f737871, v18
	v_fmac_f32_e32 v4, 0xbf737871, v22
	s_delay_alu instid0(VALU_DEP_4) | instskip(NEXT) | instid1(VALU_DEP_4)
	v_dual_sub_f32 v8, v10, v8 :: v_dual_fmac_f32 v19, 0x3e9e377a, v23
	v_dual_add_f32 v22, v26, v11 :: v_dual_fmac_f32 v5, -0.5, v25
	s_delay_alu instid0(VALU_DEP_3) | instskip(NEXT) | instid1(VALU_DEP_3)
	v_fmac_f32_e32 v4, 0x3f167918, v20
	v_dual_fmac_f32 v13, 0x3f167918, v8 :: v_dual_sub_f32 v10, v7, v11
	s_delay_alu instid0(VALU_DEP_3) | instskip(SKIP_2) | instid1(VALU_DEP_3)
	v_dual_add_f32 v20, v22, v9 :: v_dual_sub_f32 v7, v11, v7
	v_mul_hi_u32 v11, 0x33333334, v16
	v_dual_sub_f32 v24, v14, v9 :: v_dual_sub_f32 v9, v9, v14
	v_dual_add_f32 v22, v20, v14 :: v_dual_lshlrev_b32 v25, 3, v15
	v_fmamk_f32 v20, v8, 0xbf737871, v5
	v_fmac_f32_e32 v5, 0x3f737871, v8
	s_delay_alu instid0(VALU_DEP_4) | instskip(SKIP_1) | instid1(VALU_DEP_4)
	v_dual_add_f32 v10, v10, v24 :: v_dual_add_f32 v7, v7, v9
	v_fmac_f32_e32 v18, 0xbf737871, v6
	v_fmac_f32_e32 v20, 0x3f167918, v6
	v_mul_u32_u24_e32 v9, 0x280, v16
	v_fmac_f32_e32 v5, 0xbf167918, v6
	v_lshl_add_u32 v6, v11, 2, v11
	v_fmac_f32_e32 v18, 0xbf167918, v8
	v_dual_fmac_f32 v4, 0x3e9e377a, v23 :: v_dual_fmac_f32 v13, 0x3e9e377a, v10
	v_add3_u32 v14, 0, v9, v25
	s_delay_alu instid0(VALU_DEP_4)
	v_sub_nc_u32_e32 v23, v16, v6
	v_fmac_f32_e32 v20, 0x3e9e377a, v7
	v_dual_fmac_f32 v5, 0x3e9e377a, v7 :: v_dual_fmac_f32 v18, 0x3e9e377a, v10
	ds_store_2addr_b64 v14, v[21:22], v[12:13] offset1:16
	ds_store_2addr_b64 v14, v[19:20], v[4:5] offset0:32 offset1:48
	v_lshlrev_b32_e32 v4, 5, v23
	ds_store_b64 v14, v[17:18] offset:512
	s_waitcnt lgkmcnt(0)
	s_barrier
	buffer_gl0_inv
	s_clause 0x1
	global_load_b128 v[5:8], v4, s[0:1]
	global_load_b128 v[9:12], v4, s[0:1] offset:16
	v_lshlrev_b32_e32 v4, 9, v16
	v_mul_hi_u32 v24, 0x3333334, v0
	s_delay_alu instid0(VALU_DEP_2)
	v_sub_nc_u32_e32 v4, v14, v4
	ds_load_b64 v[13:14], v4 offset:3200
	ds_load_b64 v[17:18], v4 offset:6400
	ds_load_b64 v[19:20], v4 offset:9600
	ds_load_b64 v[21:22], v4 offset:12800
	v_mul_u32_u24_e32 v24, 25, v24
	s_delay_alu instid0(VALU_DEP_1)
	v_add_lshl_u32 v26, v24, v23, 7
	ds_load_2addr_b32 v[23:24], v4 offset1:1
	s_waitcnt vmcnt(0) lgkmcnt(0)
	s_barrier
	buffer_gl0_inv
	v_add3_u32 v25, 0, v26, v25
	v_dual_mul_f32 v27, v8, v18 :: v_dual_mul_f32 v28, v10, v20
	v_mul_f32_e32 v29, v12, v22
	v_mul_f32_e32 v12, v12, v21
	s_delay_alu instid0(VALU_DEP_3) | instskip(SKIP_2) | instid1(VALU_DEP_4)
	v_fmac_f32_e32 v27, v7, v17
	v_mul_f32_e32 v8, v8, v17
	v_fmac_f32_e32 v28, v9, v19
	v_fma_f32 v12, v11, v22, -v12
	v_dual_mul_f32 v26, v6, v14 :: v_dual_fmac_f32 v29, v11, v21
	v_mul_f32_e32 v6, v6, v13
	s_delay_alu instid0(VALU_DEP_2) | instskip(NEXT) | instid1(VALU_DEP_3)
	v_fmac_f32_e32 v26, v5, v13
	v_sub_f32_e32 v11, v29, v28
	s_delay_alu instid0(VALU_DEP_3) | instskip(SKIP_1) | instid1(VALU_DEP_2)
	v_fma_f32 v5, v5, v14, -v6
	v_fma_f32 v6, v7, v18, -v8
	v_sub_f32_e32 v13, v5, v12
	s_delay_alu instid0(VALU_DEP_2) | instskip(SKIP_2) | instid1(VALU_DEP_2)
	v_sub_f32_e32 v33, v6, v5
	v_dual_mul_f32 v10, v10, v19 :: v_dual_sub_f32 v19, v28, v29
	v_sub_f32_e32 v30, v5, v6
	v_fma_f32 v8, v9, v20, -v10
	v_add_f32_e32 v9, v27, v28
	s_delay_alu instid0(VALU_DEP_2) | instskip(SKIP_3) | instid1(VALU_DEP_3)
	v_sub_f32_e32 v31, v12, v8
	v_add_f32_e32 v7, v26, v23
	v_add_f32_e32 v17, v26, v29
	;; [unrolled: 1-line block ×3, first 2 shown]
	v_dual_sub_f32 v22, v26, v29 :: v_dual_add_f32 v7, v7, v27
	v_sub_f32_e32 v10, v26, v27
	v_sub_f32_e32 v18, v27, v26
	s_delay_alu instid0(VALU_DEP_2) | instskip(NEXT) | instid1(VALU_DEP_4)
	v_dual_sub_f32 v26, v27, v28 :: v_dual_add_f32 v27, v10, v11
	v_dual_add_f32 v20, v24, v5 :: v_dual_add_f32 v11, v7, v28
	v_add_f32_e32 v32, v5, v12
	v_fma_f32 v5, -0.5, v9, v23
	v_sub_f32_e32 v14, v6, v8
	v_fma_f32 v23, -0.5, v17, v23
	v_add_f32_e32 v17, v18, v19
	v_add_f32_e32 v11, v11, v29
	v_dual_fmamk_f32 v7, v13, 0xbf737871, v5 :: v_dual_sub_f32 v34, v8, v12
	s_delay_alu instid0(VALU_DEP_4) | instskip(SKIP_2) | instid1(VALU_DEP_4)
	v_dual_fmamk_f32 v9, v14, 0x3f737871, v23 :: v_dual_add_f32 v10, v20, v6
	v_fma_f32 v6, -0.5, v21, v24
	v_dual_fmac_f32 v23, 0xbf737871, v14 :: v_dual_fmac_f32 v24, -0.5, v32
	v_fmac_f32_e32 v7, 0xbf167918, v14
	s_delay_alu instid0(VALU_DEP_4) | instskip(NEXT) | instid1(VALU_DEP_4)
	v_dual_fmac_f32 v9, 0xbf167918, v13 :: v_dual_add_f32 v20, v10, v8
	v_dual_fmamk_f32 v8, v22, 0x3f737871, v6 :: v_dual_fmac_f32 v5, 0x3f737871, v13
	s_delay_alu instid0(VALU_DEP_3)
	v_fmac_f32_e32 v7, 0x3e9e377a, v27
	v_fmac_f32_e32 v23, 0x3f167918, v13
	v_fmamk_f32 v10, v26, 0xbf737871, v24
	v_fmac_f32_e32 v24, 0x3f737871, v26
	v_fmac_f32_e32 v6, 0xbf737871, v22
	v_dual_add_f32 v18, v30, v31 :: v_dual_fmac_f32 v5, 0x3f167918, v14
	v_fmac_f32_e32 v8, 0x3f167918, v26
	v_add_f32_e32 v19, v33, v34
	v_fmac_f32_e32 v10, 0x3f167918, v22
	v_fmac_f32_e32 v24, 0xbf167918, v22
	;; [unrolled: 1-line block ×3, first 2 shown]
	v_dual_add_f32 v12, v20, v12 :: v_dual_fmac_f32 v5, 0x3e9e377a, v27
	v_dual_fmac_f32 v9, 0x3e9e377a, v17 :: v_dual_fmac_f32 v8, 0x3e9e377a, v18
	v_dual_fmac_f32 v23, 0x3e9e377a, v17 :: v_dual_fmac_f32 v10, 0x3e9e377a, v19
	v_fmac_f32_e32 v24, 0x3e9e377a, v19
	v_fmac_f32_e32 v6, 0x3e9e377a, v18
	ds_store_2addr_b64 v25, v[11:12], v[7:8] offset1:80
	ds_store_2addr_b64 v25, v[9:10], v[23:24] offset0:160 offset1:240
	ds_store_b64 v25, v[5:6] offset:2560
	s_waitcnt lgkmcnt(0)
	s_barrier
	buffer_gl0_inv
	s_and_saveexec_b32 s6, s3
	s_cbranch_execz .LBB0_25
; %bb.24:
	v_mul_hi_u32 v5, 0xa3d70a4, v16
	v_mad_u64_u32 v[20:21], null, s14, v15, 0
	v_lshlrev_b64 v[1:2], 3, v[1:2]
	s_mul_hi_u32 s3, s4, s2
	v_mul_lo_u32 v32, 0xffffffe7, v3
	s_delay_alu instid0(VALU_DEP_4) | instskip(NEXT) | instid1(VALU_DEP_1)
	v_mul_u32_u24_e32 v5, 25, v5
	v_sub_nc_u32_e32 v28, v16, v5
	s_delay_alu instid0(VALU_DEP_1)
	v_lshlrev_b32_e32 v9, 5, v28
	s_clause 0x1
	global_load_b128 v[5:8], v9, s[0:1] offset:160
	global_load_b128 v[9:12], v9, s[0:1] offset:176
	s_mul_i32 s1, s5, s2
	ds_load_b64 v[13:14], v4 offset:12800
	ds_load_b64 v[16:17], v4 offset:6400
	;; [unrolled: 1-line block ×4, first 2 shown]
	ds_load_2addr_b32 v[24:25], v4 offset1:1
	v_mul_hi_u32_u24_e32 v4, 0xa3d70b, v0
	v_mov_b32_e32 v0, v21
	s_mul_i32 s0, s4, s2
	s_add_i32 s1, s3, s1
	s_add_i32 s2, 0, 0x3e80
	s_lshl_b64 s[0:1], s[0:1], 3
	v_mad_u64_u32 v[26:27], null, s15, v15, v[0:1]
	s_add_u32 s0, s18, s0
	s_addc_u32 s1, s19, s1
	v_add_co_u32 v15, vcc_lo, s0, v1
	v_mad_u32_u24 v4, 0x7d, v4, v28
	v_add_co_ci_u32_e32 v33, vcc_lo, s1, v2, vcc_lo
	v_mul_lo_u32 v2, v28, v3
	v_dual_mov_b32 v21, v26 :: v_dual_add_nc_u32 v0, 0x64, v28
	s_delay_alu instid0(VALU_DEP_4) | instskip(SKIP_2) | instid1(VALU_DEP_4)
	v_add_nc_u32_e32 v42, 0x4b, v4
	v_add_nc_u32_e32 v43, 0x64, v4
	;; [unrolled: 1-line block ×3, first 2 shown]
	v_mul_lo_u32 v34, v0, v3
	v_mad_u64_u32 v[0:1], null, s12, v4, 0
	v_lshrrev_b32_e32 v35, 9, v2
	v_lshrrev_b32_e32 v37, 3, v2
	v_mad_u64_u32 v[28:29], null, s12, v42, 0
	v_mad_u64_u32 v[30:31], null, s12, v43, 0
	v_and_b32_e32 v36, 63, v2
	v_lshlrev_b64 v[2:3], 3, v[20:21]
	v_add_nc_u32_e32 v41, 50, v4
	v_mad_u64_u32 v[20:21], null, s12, v40, 0
	v_lshrrev_b32_e32 v38, 9, v34
	v_and_b32_e32 v39, 63, v34
	v_add_co_u32 v52, vcc_lo, v15, v2
	v_add_co_ci_u32_e32 v53, vcc_lo, v33, v3, vcc_lo
	v_mad_u64_u32 v[2:3], null, s13, v4, v[1:2]
	v_mov_b32_e32 v4, v29
	v_mad_u64_u32 v[26:27], null, s12, v41, 0
	v_lshrrev_b32_e32 v44, 3, v34
	v_add_nc_u32_e32 v34, v34, v32
	v_and_b32_e32 v33, 0x1f8, v38
	v_lshl_add_u32 v45, v39, 3, 0
	s_delay_alu instid0(VALU_DEP_4) | instskip(NEXT) | instid1(VALU_DEP_4)
	v_dual_mov_b32 v1, v21 :: v_dual_and_b32 v38, 0x1f8, v44
	v_lshrrev_b32_e32 v39, 9, v34
	v_mov_b32_e32 v3, v27
	v_and_b32_e32 v35, 0x1f8, v35
	v_lshrrev_b32_e32 v46, 3, v34
	v_add_nc_u32_e32 v48, s2, v38
	v_and_b32_e32 v21, 0x1f8, v39
	v_mad_u64_u32 v[38:39], null, s13, v40, v[1:2]
	v_mad_u64_u32 v[39:40], null, s13, v41, v[3:4]
	v_and_b32_e32 v44, 63, v34
	v_and_b32_e32 v37, 0x1f8, v37
	v_add_nc_u32_e32 v35, s2, v35
	v_mov_b32_e32 v15, v31
	v_lshl_add_u32 v36, v36, 3, 0
	v_add_nc_u32_e32 v47, s2, v33
	v_add_nc_u32_e32 v37, s2, v37
	v_and_b32_e32 v27, 0x1f8, v46
	v_mov_b32_e32 v1, v2
	s_delay_alu instid0(VALU_DEP_1) | instskip(NEXT) | instid1(VALU_DEP_1)
	v_lshlrev_b64 v[0:1], 3, v[0:1]
	v_add_co_u32 v0, vcc_lo, v52, v0
	s_delay_alu instid0(VALU_DEP_2) | instskip(SKIP_3) | instid1(VALU_DEP_1)
	v_add_co_ci_u32_e32 v1, vcc_lo, v53, v1, vcc_lo
	s_waitcnt vmcnt(1)
	v_mad_u64_u32 v[40:41], null, s13, v42, v[4:5]
	v_add_nc_u32_e32 v34, v34, v32
	v_lshrrev_b32_e32 v29, 9, v34
	s_delay_alu instid0(VALU_DEP_1)
	v_dual_mov_b32 v29, v40 :: v_dual_and_b32 v50, 0x1f8, v29
	v_and_b32_e32 v31, 63, v34
	v_lshrrev_b32_e32 v46, 3, v34
	v_add_nc_u32_e32 v49, v34, v32
	ds_load_b64 v[32:33], v35 offset:1024
	ds_load_b64 v[34:35], v36 offset:16000
	;; [unrolled: 1-line block ×3, first 2 shown]
	v_lshlrev_b64 v[28:29], 3, v[28:29]
	v_lshl_add_u32 v51, v31, 3, 0
	v_and_b32_e32 v46, 0x1f8, v46
	v_lshrrev_b32_e32 v54, 9, v49
	v_and_b32_e32 v55, 63, v49
	v_lshrrev_b32_e32 v49, 3, v49
	s_delay_alu instid0(VALU_DEP_2) | instskip(NEXT) | instid1(VALU_DEP_2)
	v_lshl_add_u32 v57, v55, 3, 0
	v_and_b32_e32 v55, 0x1f8, v49
	s_waitcnt lgkmcnt(0)
	v_mul_f32_e32 v60, v35, v37
	v_mad_u64_u32 v[3:4], null, s13, v43, v[15:16]
	v_mul_f32_e32 v37, v34, v37
	v_add_nc_u32_e32 v4, s2, v21
	v_add_nc_u32_e32 v15, s2, v27
	v_mov_b32_e32 v21, v38
	v_mov_b32_e32 v27, v39
	v_fmac_f32_e32 v37, v35, v36
	v_mov_b32_e32 v31, v3
	ds_load_b64 v[2:3], v47 offset:1024
	ds_load_b64 v[38:39], v45 offset:16000
	;; [unrolled: 1-line block ×4, first 2 shown]
	v_lshlrev_b64 v[20:21], 3, v[20:21]
	v_lshlrev_b64 v[26:27], 3, v[26:27]
	v_add_nc_u32_e32 v56, s2, v46
	v_and_b32_e32 v54, 0x1f8, v54
	v_lshlrev_b64 v[30:31], 3, v[30:31]
	v_lshl_add_u32 v44, v44, 3, 0
	v_add_co_u32 v20, vcc_lo, v52, v20
	v_add_co_ci_u32_e32 v21, vcc_lo, v53, v21, vcc_lo
	v_add_co_u32 v26, vcc_lo, v52, v26
	v_add_co_ci_u32_e32 v27, vcc_lo, v53, v27, vcc_lo
	v_add_co_u32 v28, vcc_lo, v52, v28
	v_add_co_ci_u32_e32 v29, vcc_lo, v53, v29, vcc_lo
	s_waitcnt lgkmcnt(1)
	v_mul_f32_e32 v61, v39, v41
	v_mul_f32_e32 v41, v38, v41
	v_add_co_u32 v30, vcc_lo, v52, v30
	v_add_co_ci_u32_e32 v31, vcc_lo, v53, v31, vcc_lo
	s_delay_alu instid0(VALU_DEP_3)
	v_dual_fmac_f32 v41, v39, v40 :: v_dual_add_nc_u32 v4, s2, v50
	ds_load_b64 v[44:45], v44 offset:16000
	ds_load_b64 v[46:47], v15 offset:512
	;; [unrolled: 1-line block ×4, first 2 shown]
	v_add_nc_u32_e32 v4, s2, v54
	ds_load_b64 v[52:53], v56 offset:512
	v_add_nc_u32_e32 v15, s2, v55
	ds_load_b64 v[54:55], v4 offset:1024
	ds_load_b64 v[56:57], v57 offset:16000
	;; [unrolled: 1-line block ×3, first 2 shown]
	v_fma_f32 v4, v34, v36, -v60
	v_fma_f32 v15, v38, v40, -v61
	v_mul_f32_e32 v36, v37, v33
	s_delay_alu instid0(VALU_DEP_3) | instskip(NEXT) | instid1(VALU_DEP_3)
	v_dual_mul_f32 v38, v41, v3 :: v_dual_mul_f32 v33, v4, v33
	v_mul_f32_e32 v3, v15, v3
	s_delay_alu instid0(VALU_DEP_3) | instskip(NEXT) | instid1(VALU_DEP_3)
	v_fma_f32 v36, v32, v4, -v36
	v_fma_f32 v15, v2, v15, -v38
	s_delay_alu instid0(VALU_DEP_4)
	v_fmac_f32_e32 v33, v32, v37
	s_waitcnt lgkmcnt(6)
	v_mul_f32_e32 v35, v44, v47
	v_dual_mul_f32 v34, v45, v47 :: v_dual_fmac_f32 v3, v2, v41
	s_waitcnt lgkmcnt(3)
	v_mul_f32_e32 v39, v51, v53
	s_delay_alu instid0(VALU_DEP_3) | instskip(NEXT) | instid1(VALU_DEP_3)
	v_dual_fmac_f32 v35, v45, v46 :: v_dual_mul_f32 v40, v50, v53
	v_fma_f32 v34, v44, v46, -v34
	s_waitcnt lgkmcnt(0)
	v_mul_f32_e32 v32, v57, v59
	v_fma_f32 v38, v50, v52, -v39
	v_mul_f32_e32 v2, v35, v43
	v_mul_f32_e32 v4, v56, v59
	v_fmac_f32_e32 v40, v51, v52
	v_fma_f32 v32, v56, v58, -v32
	v_mul_f32_e32 v39, v38, v49
	s_delay_alu instid0(VALU_DEP_4)
	v_dual_mul_f32 v37, v34, v43 :: v_dual_fmac_f32 v4, v57, v58
	v_fma_f32 v34, v42, v34, -v2
	v_mul_f32_e32 v2, v40, v49
	v_mul_f32_e32 v43, v32, v55
	s_waitcnt vmcnt(0)
	v_dual_fmac_f32 v39, v48, v40 :: v_dual_mul_f32 v40, v10, v18
	v_mul_f32_e32 v10, v10, v19
	s_delay_alu instid0(VALU_DEP_1)
	v_dual_mul_f32 v41, v4, v55 :: v_dual_fmac_f32 v10, v9, v18
	v_fmac_f32_e32 v43, v54, v4
	v_mul_f32_e32 v4, v8, v16
	v_dual_mul_f32 v8, v8, v17 :: v_dual_fmac_f32 v37, v42, v35
	v_fma_f32 v35, v48, v38, -v2
	v_mul_f32_e32 v2, v6, v22
	v_mul_f32_e32 v38, v12, v13
	;; [unrolled: 1-line block ×4, first 2 shown]
	v_fma_f32 v4, v7, v17, -v4
	v_fma_f32 v2, v5, v23, -v2
	;; [unrolled: 1-line block ×4, first 2 shown]
	v_fmac_f32_e32 v6, v5, v22
	v_fmac_f32_e32 v12, v11, v13
	v_fmac_f32_e32 v8, v7, v16
	v_dual_sub_f32 v5, v2, v4 :: v_dual_sub_f32 v38, v4, v2
	v_sub_f32_e32 v7, v14, v17
	s_delay_alu instid0(VALU_DEP_4) | instskip(NEXT) | instid1(VALU_DEP_4)
	v_dual_add_f32 v9, v4, v17 :: v_dual_sub_f32 v44, v10, v12
	v_dual_sub_f32 v13, v8, v10 :: v_dual_sub_f32 v16, v6, v8
	v_fma_f32 v32, v54, v32, -v41
	v_sub_f32_e32 v18, v12, v10
	v_add_f32_e32 v22, v8, v10
	v_add_f32_e32 v41, v2, v14
	v_sub_f32_e32 v42, v8, v6
	v_dual_sub_f32 v19, v4, v17 :: v_dual_sub_f32 v40, v17, v14
	v_add_f32_e32 v5, v5, v7
	v_fma_f32 v46, -0.5, v9, v25
	v_add_f32_e32 v7, v16, v18
	v_fma_f32 v16, -0.5, v22, v24
	v_fma_f32 v18, -0.5, v41, v25
	v_sub_f32_e32 v23, v2, v14
	v_dual_sub_f32 v11, v6, v12 :: v_dual_add_f32 v2, v25, v2
	v_add_f32_e32 v22, v42, v44
	v_add_f32_e32 v45, v6, v12
	;; [unrolled: 1-line block ×5, first 2 shown]
	v_fmamk_f32 v40, v13, 0x3f737871, v18
	v_fma_f32 v24, -0.5, v45, v24
	v_add_f32_e32 v4, v6, v8
	v_fmamk_f32 v38, v23, 0x3f737871, v16
	v_dual_fmamk_f32 v25, v11, 0xbf737871, v46 :: v_dual_add_f32 v2, v2, v17
	s_delay_alu instid0(VALU_DEP_3) | instskip(SKIP_1) | instid1(VALU_DEP_3)
	v_dual_fmamk_f32 v41, v19, 0xbf737871, v24 :: v_dual_add_f32 v4, v4, v10
	v_fmac_f32_e32 v46, 0x3f737871, v11
	v_dual_fmac_f32 v25, 0xbf167918, v13 :: v_dual_fmac_f32 v40, 0xbf167918, v11
	v_fmac_f32_e32 v18, 0xbf737871, v13
	v_fmac_f32_e32 v16, 0xbf737871, v23
	s_delay_alu instid0(VALU_DEP_4) | instskip(NEXT) | instid1(VALU_DEP_4)
	v_dual_fmac_f32 v41, 0x3f167918, v23 :: v_dual_fmac_f32 v46, 0x3f167918, v13
	v_dual_add_f32 v12, v4, v12 :: v_dual_fmac_f32 v25, 0x3e9e377a, v5
	v_fmac_f32_e32 v38, 0x3f167918, v19
	v_fmac_f32_e32 v24, 0x3f737871, v19
	s_delay_alu instid0(VALU_DEP_4)
	v_fmac_f32_e32 v41, 0x3e9e377a, v22
	v_dual_fmac_f32 v18, 0x3f167918, v11 :: v_dual_add_f32 v11, v2, v14
	v_fmac_f32_e32 v16, 0xbf167918, v19
	v_fmac_f32_e32 v46, 0x3e9e377a, v5
	v_dual_mul_f32 v5, v12, v33 :: v_dual_fmac_f32 v38, 0x3e9e377a, v7
	v_fmac_f32_e32 v24, 0xbf167918, v23
	s_delay_alu instid0(VALU_DEP_4) | instskip(SKIP_1) | instid1(VALU_DEP_4)
	v_fmac_f32_e32 v16, 0x3e9e377a, v7
	v_fmac_f32_e32 v40, 0x3e9e377a, v9
	v_dual_mul_f32 v2, v11, v33 :: v_dual_mul_f32 v7, v38, v3
	s_delay_alu instid0(VALU_DEP_4) | instskip(SKIP_3) | instid1(VALU_DEP_4)
	v_fmac_f32_e32 v24, 0x3e9e377a, v22
	v_fmac_f32_e32 v18, 0x3e9e377a, v9
	v_mul_f32_e32 v14, v16, v43
	v_dual_mul_f32 v10, v46, v43 :: v_dual_mul_f32 v9, v41, v37
	v_mul_f32_e32 v13, v24, v39
	s_delay_alu instid0(VALU_DEP_4)
	v_mul_f32_e32 v8, v18, v39
	v_mul_f32_e32 v6, v40, v37
	;; [unrolled: 1-line block ×3, first 2 shown]
	v_fma_f32 v3, v11, v36, -v5
	v_fmac_f32_e32 v2, v12, v36
	v_fma_f32 v11, v46, v32, -v14
	v_fmac_f32_e32 v10, v16, v32
	v_fma_f32 v5, v25, v15, -v7
	v_fma_f32 v7, v40, v34, -v9
	;; [unrolled: 1-line block ×3, first 2 shown]
	v_fmac_f32_e32 v8, v24, v35
	v_fmac_f32_e32 v6, v41, v34
	v_fmac_f32_e32 v4, v38, v15
	s_clause 0x4
	global_store_b64 v[0:1], v[2:3], off
	global_store_b64 v[20:21], v[10:11], off
	;; [unrolled: 1-line block ×5, first 2 shown]
.LBB0_25:
	s_nop 0
	s_sendmsg sendmsg(MSG_DEALLOC_VGPRS)
	s_endpgm
	.section	.rodata,"a",@progbits
	.p2align	6, 0x0
	.amdhsa_kernel fft_rtc_back_len125_factors_5_5_5_wgs_400_tpt_25_sp_op_CI_CI_sbcc_twdbase6_3step_dirReg_intrinsicRead
		.amdhsa_group_segment_fixed_size 0
		.amdhsa_private_segment_fixed_size 0
		.amdhsa_kernarg_size 112
		.amdhsa_user_sgpr_count 15
		.amdhsa_user_sgpr_dispatch_ptr 0
		.amdhsa_user_sgpr_queue_ptr 0
		.amdhsa_user_sgpr_kernarg_segment_ptr 1
		.amdhsa_user_sgpr_dispatch_id 0
		.amdhsa_user_sgpr_private_segment_size 0
		.amdhsa_wavefront_size32 1
		.amdhsa_uses_dynamic_stack 0
		.amdhsa_enable_private_segment 0
		.amdhsa_system_sgpr_workgroup_id_x 1
		.amdhsa_system_sgpr_workgroup_id_y 0
		.amdhsa_system_sgpr_workgroup_id_z 0
		.amdhsa_system_sgpr_workgroup_info 0
		.amdhsa_system_vgpr_workitem_id 0
		.amdhsa_next_free_vgpr 62
		.amdhsa_next_free_sgpr 52
		.amdhsa_reserve_vcc 1
		.amdhsa_float_round_mode_32 0
		.amdhsa_float_round_mode_16_64 0
		.amdhsa_float_denorm_mode_32 3
		.amdhsa_float_denorm_mode_16_64 3
		.amdhsa_dx10_clamp 1
		.amdhsa_ieee_mode 1
		.amdhsa_fp16_overflow 0
		.amdhsa_workgroup_processor_mode 1
		.amdhsa_memory_ordered 1
		.amdhsa_forward_progress 0
		.amdhsa_shared_vgpr_count 0
		.amdhsa_exception_fp_ieee_invalid_op 0
		.amdhsa_exception_fp_denorm_src 0
		.amdhsa_exception_fp_ieee_div_zero 0
		.amdhsa_exception_fp_ieee_overflow 0
		.amdhsa_exception_fp_ieee_underflow 0
		.amdhsa_exception_fp_ieee_inexact 0
		.amdhsa_exception_int_div_zero 0
	.end_amdhsa_kernel
	.text
.Lfunc_end0:
	.size	fft_rtc_back_len125_factors_5_5_5_wgs_400_tpt_25_sp_op_CI_CI_sbcc_twdbase6_3step_dirReg_intrinsicRead, .Lfunc_end0-fft_rtc_back_len125_factors_5_5_5_wgs_400_tpt_25_sp_op_CI_CI_sbcc_twdbase6_3step_dirReg_intrinsicRead
                                        ; -- End function
	.section	.AMDGPU.csdata,"",@progbits
; Kernel info:
; codeLenInByte = 4808
; NumSgprs: 54
; NumVgprs: 62
; ScratchSize: 0
; MemoryBound: 0
; FloatMode: 240
; IeeeMode: 1
; LDSByteSize: 0 bytes/workgroup (compile time only)
; SGPRBlocks: 6
; VGPRBlocks: 7
; NumSGPRsForWavesPerEU: 54
; NumVGPRsForWavesPerEU: 62
; Occupancy: 13
; WaveLimiterHint : 1
; COMPUTE_PGM_RSRC2:SCRATCH_EN: 0
; COMPUTE_PGM_RSRC2:USER_SGPR: 15
; COMPUTE_PGM_RSRC2:TRAP_HANDLER: 0
; COMPUTE_PGM_RSRC2:TGID_X_EN: 1
; COMPUTE_PGM_RSRC2:TGID_Y_EN: 0
; COMPUTE_PGM_RSRC2:TGID_Z_EN: 0
; COMPUTE_PGM_RSRC2:TIDIG_COMP_CNT: 0
	.text
	.p2alignl 7, 3214868480
	.fill 96, 4, 3214868480
	.type	__hip_cuid_a2036983ff007cb3,@object ; @__hip_cuid_a2036983ff007cb3
	.section	.bss,"aw",@nobits
	.globl	__hip_cuid_a2036983ff007cb3
__hip_cuid_a2036983ff007cb3:
	.byte	0                               ; 0x0
	.size	__hip_cuid_a2036983ff007cb3, 1

	.ident	"AMD clang version 19.0.0git (https://github.com/RadeonOpenCompute/llvm-project roc-6.4.0 25133 c7fe45cf4b819c5991fe208aaa96edf142730f1d)"
	.section	".note.GNU-stack","",@progbits
	.addrsig
	.addrsig_sym __hip_cuid_a2036983ff007cb3
	.amdgpu_metadata
---
amdhsa.kernels:
  - .args:
      - .actual_access:  read_only
        .address_space:  global
        .offset:         0
        .size:           8
        .value_kind:     global_buffer
      - .address_space:  global
        .offset:         8
        .size:           8
        .value_kind:     global_buffer
      - .offset:         16
        .size:           8
        .value_kind:     by_value
      - .actual_access:  read_only
        .address_space:  global
        .offset:         24
        .size:           8
        .value_kind:     global_buffer
      - .actual_access:  read_only
        .address_space:  global
        .offset:         32
        .size:           8
        .value_kind:     global_buffer
      - .actual_access:  read_only
        .address_space:  global
        .offset:         40
        .size:           8
        .value_kind:     global_buffer
      - .offset:         48
        .size:           8
        .value_kind:     by_value
      - .actual_access:  read_only
        .address_space:  global
        .offset:         56
        .size:           8
        .value_kind:     global_buffer
      - .actual_access:  read_only
        .address_space:  global
        .offset:         64
        .size:           8
        .value_kind:     global_buffer
      - .offset:         72
        .size:           4
        .value_kind:     by_value
      - .actual_access:  read_only
        .address_space:  global
        .offset:         80
        .size:           8
        .value_kind:     global_buffer
      - .actual_access:  read_only
        .address_space:  global
        .offset:         88
        .size:           8
        .value_kind:     global_buffer
      - .actual_access:  read_only
        .address_space:  global
        .offset:         96
        .size:           8
        .value_kind:     global_buffer
      - .actual_access:  write_only
        .address_space:  global
        .offset:         104
        .size:           8
        .value_kind:     global_buffer
    .group_segment_fixed_size: 0
    .kernarg_segment_align: 8
    .kernarg_segment_size: 112
    .language:       OpenCL C
    .language_version:
      - 2
      - 0
    .max_flat_workgroup_size: 400
    .name:           fft_rtc_back_len125_factors_5_5_5_wgs_400_tpt_25_sp_op_CI_CI_sbcc_twdbase6_3step_dirReg_intrinsicRead
    .private_segment_fixed_size: 0
    .sgpr_count:     54
    .sgpr_spill_count: 0
    .symbol:         fft_rtc_back_len125_factors_5_5_5_wgs_400_tpt_25_sp_op_CI_CI_sbcc_twdbase6_3step_dirReg_intrinsicRead.kd
    .uniform_work_group_size: 1
    .uses_dynamic_stack: false
    .vgpr_count:     62
    .vgpr_spill_count: 0
    .wavefront_size: 32
    .workgroup_processor_mode: 1
amdhsa.target:   amdgcn-amd-amdhsa--gfx1100
amdhsa.version:
  - 1
  - 2
...

	.end_amdgpu_metadata
